;; amdgpu-corpus repo=llvm/llvm-project kind=harvested arch=n/a opt=n/a
// NOTE: Assertions have been autogenerated by utils/update_mc_test_checks.py UTC_ARGS: --version 5
// RUN: llvm-mc -triple=amdgcn -mcpu=gfx1170 -mattr=-real-true16 -show-encoding %s | FileCheck --check-prefixes=GFX1170 %s
// RUN: llvm-mc -triple=amdgcn -mcpu=gfx1170 -mattr=-real-true16 -show-encoding %s | %extract-encodings | llvm-mc -triple=amdgcn -mcpu=gfx1170 -mattr=-real-true16 -disassemble -show-encoding | FileCheck --strict-whitespace --check-prefixes=GFX1170 %s

v_max_num_f16 v5, v1, v2 dpp8:[7,6,5,4,3,2,1,0]
// GFX1170: v_max_num_f16_dpp v5, v1, v2 dpp8:[7,6,5,4,3,2,1,0] ; encoding: [0xe9,0x04,0x0a,0x72,0x01,0x77,0x39,0x05]

v_max_num_f16 v5, v1, v2 dpp8:[7,6,5,4,3,2,1,0] fi:1
// GFX1170: v_max_num_f16_dpp v5, v1, v2 dpp8:[7,6,5,4,3,2,1,0] fi:1 ; encoding: [0xea,0x04,0x0a,0x72,0x01,0x77,0x39,0x05]

v_max_num_f16 v127, v127, v127 dpp8:[0,0,0,0,0,0,0,0] fi:0
// GFX1170: v_max_num_f16_dpp v127, v127, v127 dpp8:[0,0,0,0,0,0,0,0] ; encoding: [0xe9,0xfe,0xfe,0x72,0x7f,0x00,0x00,0x00]

v_max_num_f32 v5, v1, v2 dpp8:[7,6,5,4,3,2,1,0]
// GFX1170: v_max_num_f32_dpp v5, v1, v2 dpp8:[7,6,5,4,3,2,1,0] ; encoding: [0xe9,0x04,0x0a,0x20,0x01,0x77,0x39,0x05]

v_max_num_f32 v5, v1, v2 dpp8:[7,6,5,4,3,2,1,0] fi:1
// GFX1170: v_max_num_f32_dpp v5, v1, v2 dpp8:[7,6,5,4,3,2,1,0] fi:1 ; encoding: [0xea,0x04,0x0a,0x20,0x01,0x77,0x39,0x05]

v_max_num_f32 v255, v255, v255 dpp8:[0,0,0,0,0,0,0,0] fi:0
// GFX1170: v_max_num_f32_dpp v255, v255, v255 dpp8:[0,0,0,0,0,0,0,0] ; encoding: [0xe9,0xfe,0xff,0x21,0xff,0x00,0x00,0x00]

v_min_num_f16 v5, v1, v2 dpp8:[7,6,5,4,3,2,1,0]
// GFX1170: v_min_num_f16_dpp v5, v1, v2 dpp8:[7,6,5,4,3,2,1,0] ; encoding: [0xe9,0x04,0x0a,0x74,0x01,0x77,0x39,0x05]

v_min_num_f16 v5, v1, v2 dpp8:[7,6,5,4,3,2,1,0] fi:1
// GFX1170: v_min_num_f16_dpp v5, v1, v2 dpp8:[7,6,5,4,3,2,1,0] fi:1 ; encoding: [0xea,0x04,0x0a,0x74,0x01,0x77,0x39,0x05]

v_min_num_f16 v127, v127, v127 dpp8:[0,0,0,0,0,0,0,0] fi:0
// GFX1170: v_min_num_f16_dpp v127, v127, v127 dpp8:[0,0,0,0,0,0,0,0] ; encoding: [0xe9,0xfe,0xfe,0x74,0x7f,0x00,0x00,0x00]

v_min_num_f32 v5, v1, v2 dpp8:[7,6,5,4,3,2,1,0]
// GFX1170: v_min_num_f32_dpp v5, v1, v2 dpp8:[7,6,5,4,3,2,1,0] ; encoding: [0xe9,0x04,0x0a,0x1e,0x01,0x77,0x39,0x05]

v_min_num_f32 v5, v1, v2 dpp8:[7,6,5,4,3,2,1,0] fi:1
// GFX1170: v_min_num_f32_dpp v5, v1, v2 dpp8:[7,6,5,4,3,2,1,0] fi:1 ; encoding: [0xea,0x04,0x0a,0x1e,0x01,0x77,0x39,0x05]

v_min_num_f32 v255, v255, v255 dpp8:[0,0,0,0,0,0,0,0] fi:0
// GFX1170: v_min_num_f32_dpp v255, v255, v255 dpp8:[0,0,0,0,0,0,0,0] ; encoding: [0xe9,0xfe,0xff,0x1f,0xff,0x00,0x00,0x00]
